;; amdgpu-corpus repo=ROCm/rocFFT kind=compiled arch=gfx1030 opt=O3
	.text
	.amdgcn_target "amdgcn-amd-amdhsa--gfx1030"
	.amdhsa_code_object_version 6
	.protected	fft_rtc_fwd_len375_factors_5_5_5_3_wgs_125_tpt_25_halfLds_half_ip_CI_sbrr_dirReg ; -- Begin function fft_rtc_fwd_len375_factors_5_5_5_3_wgs_125_tpt_25_halfLds_half_ip_CI_sbrr_dirReg
	.globl	fft_rtc_fwd_len375_factors_5_5_5_3_wgs_125_tpt_25_halfLds_half_ip_CI_sbrr_dirReg
	.p2align	8
	.type	fft_rtc_fwd_len375_factors_5_5_5_3_wgs_125_tpt_25_halfLds_half_ip_CI_sbrr_dirReg,@function
fft_rtc_fwd_len375_factors_5_5_5_3_wgs_125_tpt_25_halfLds_half_ip_CI_sbrr_dirReg: ; @fft_rtc_fwd_len375_factors_5_5_5_3_wgs_125_tpt_25_halfLds_half_ip_CI_sbrr_dirReg
; %bb.0:
	s_clause 0x1
	s_load_dwordx2 s[14:15], s[4:5], 0x18
	s_load_dwordx4 s[8:11], s[4:5], 0x0
	v_mul_u32_u24_e32 v1, 0xa3e, v0
	v_mov_b32_e32 v5, 0
	v_mov_b32_e32 v3, 0
	v_mov_b32_e32 v4, 0
	s_load_dwordx2 s[12:13], s[4:5], 0x50
	s_waitcnt lgkmcnt(0)
	s_load_dwordx2 s[2:3], s[14:15], 0x0
	v_lshrrev_b32_e32 v1, 16, v1
	v_cmp_lt_u64_e64 s0, s[10:11], 2
	v_mad_u64_u32 v[1:2], null, s6, 5, v[1:2]
	v_mov_b32_e32 v2, v5
	s_and_b32 vcc_lo, exec_lo, s0
	v_mov_b32_e32 v10, v2
	v_mov_b32_e32 v9, v1
	s_cbranch_vccnz .LBB0_8
; %bb.1:
	s_load_dwordx2 s[0:1], s[4:5], 0x10
	v_mov_b32_e32 v3, 0
	v_mov_b32_e32 v8, v2
	s_add_u32 s6, s14, 8
	v_mov_b32_e32 v4, 0
	v_mov_b32_e32 v7, v1
	s_addc_u32 s7, s15, 0
	s_mov_b64 s[18:19], 1
	s_waitcnt lgkmcnt(0)
	s_add_u32 s16, s0, 8
	s_addc_u32 s17, s1, 0
.LBB0_2:                                ; =>This Inner Loop Header: Depth=1
	s_load_dwordx2 s[20:21], s[16:17], 0x0
                                        ; implicit-def: $vgpr9_vgpr10
	s_mov_b32 s0, exec_lo
	s_waitcnt lgkmcnt(0)
	v_or_b32_e32 v6, s21, v8
	v_cmpx_ne_u64_e32 0, v[5:6]
	s_xor_b32 s1, exec_lo, s0
	s_cbranch_execz .LBB0_4
; %bb.3:                                ;   in Loop: Header=BB0_2 Depth=1
	v_cvt_f32_u32_e32 v2, s20
	v_cvt_f32_u32_e32 v6, s21
	s_sub_u32 s0, 0, s20
	s_subb_u32 s22, 0, s21
	v_fmac_f32_e32 v2, 0x4f800000, v6
	v_rcp_f32_e32 v2, v2
	v_mul_f32_e32 v2, 0x5f7ffffc, v2
	v_mul_f32_e32 v6, 0x2f800000, v2
	v_trunc_f32_e32 v6, v6
	v_fmac_f32_e32 v2, 0xcf800000, v6
	v_cvt_u32_f32_e32 v6, v6
	v_cvt_u32_f32_e32 v2, v2
	v_mul_lo_u32 v9, s0, v6
	v_mul_hi_u32 v10, s0, v2
	v_mul_lo_u32 v11, s22, v2
	v_add_nc_u32_e32 v9, v10, v9
	v_mul_lo_u32 v10, s0, v2
	v_add_nc_u32_e32 v9, v9, v11
	v_mul_hi_u32 v11, v2, v10
	v_mul_lo_u32 v12, v2, v9
	v_mul_hi_u32 v13, v2, v9
	v_mul_hi_u32 v14, v6, v10
	v_mul_lo_u32 v10, v6, v10
	v_mul_hi_u32 v15, v6, v9
	v_mul_lo_u32 v9, v6, v9
	v_add_co_u32 v11, vcc_lo, v11, v12
	v_add_co_ci_u32_e32 v12, vcc_lo, 0, v13, vcc_lo
	v_add_co_u32 v10, vcc_lo, v11, v10
	v_add_co_ci_u32_e32 v10, vcc_lo, v12, v14, vcc_lo
	v_add_co_ci_u32_e32 v11, vcc_lo, 0, v15, vcc_lo
	v_add_co_u32 v9, vcc_lo, v10, v9
	v_add_co_ci_u32_e32 v10, vcc_lo, 0, v11, vcc_lo
	v_add_co_u32 v2, vcc_lo, v2, v9
	v_add_co_ci_u32_e32 v6, vcc_lo, v6, v10, vcc_lo
	v_mul_hi_u32 v9, s0, v2
	v_mul_lo_u32 v11, s22, v2
	v_mul_lo_u32 v10, s0, v6
	v_add_nc_u32_e32 v9, v9, v10
	v_mul_lo_u32 v10, s0, v2
	v_add_nc_u32_e32 v9, v9, v11
	v_mul_hi_u32 v11, v2, v10
	v_mul_lo_u32 v12, v2, v9
	v_mul_hi_u32 v13, v2, v9
	v_mul_hi_u32 v14, v6, v10
	v_mul_lo_u32 v10, v6, v10
	v_mul_hi_u32 v15, v6, v9
	v_mul_lo_u32 v9, v6, v9
	v_add_co_u32 v11, vcc_lo, v11, v12
	v_add_co_ci_u32_e32 v12, vcc_lo, 0, v13, vcc_lo
	v_add_co_u32 v10, vcc_lo, v11, v10
	v_add_co_ci_u32_e32 v10, vcc_lo, v12, v14, vcc_lo
	v_add_co_ci_u32_e32 v11, vcc_lo, 0, v15, vcc_lo
	v_add_co_u32 v9, vcc_lo, v10, v9
	v_add_co_ci_u32_e32 v10, vcc_lo, 0, v11, vcc_lo
	v_add_co_u32 v2, vcc_lo, v2, v9
	v_add_co_ci_u32_e32 v6, vcc_lo, v6, v10, vcc_lo
	v_mul_hi_u32 v15, v7, v2
	v_mad_u64_u32 v[11:12], null, v8, v2, 0
	v_mad_u64_u32 v[9:10], null, v7, v6, 0
	v_mad_u64_u32 v[13:14], null, v8, v6, 0
	v_add_co_u32 v2, vcc_lo, v15, v9
	v_add_co_ci_u32_e32 v6, vcc_lo, 0, v10, vcc_lo
	v_add_co_u32 v2, vcc_lo, v2, v11
	v_add_co_ci_u32_e32 v2, vcc_lo, v6, v12, vcc_lo
	v_add_co_ci_u32_e32 v6, vcc_lo, 0, v14, vcc_lo
	v_add_co_u32 v2, vcc_lo, v2, v13
	v_add_co_ci_u32_e32 v6, vcc_lo, 0, v6, vcc_lo
	v_mul_lo_u32 v11, s21, v2
	v_mad_u64_u32 v[9:10], null, s20, v2, 0
	v_mul_lo_u32 v12, s20, v6
	v_sub_co_u32 v9, vcc_lo, v7, v9
	v_add3_u32 v10, v10, v12, v11
	v_sub_nc_u32_e32 v11, v8, v10
	v_subrev_co_ci_u32_e64 v11, s0, s21, v11, vcc_lo
	v_add_co_u32 v12, s0, v2, 2
	v_add_co_ci_u32_e64 v13, s0, 0, v6, s0
	v_sub_co_u32 v14, s0, v9, s20
	v_sub_co_ci_u32_e32 v10, vcc_lo, v8, v10, vcc_lo
	v_subrev_co_ci_u32_e64 v11, s0, 0, v11, s0
	v_cmp_le_u32_e32 vcc_lo, s20, v14
	v_cmp_eq_u32_e64 s0, s21, v10
	v_cndmask_b32_e64 v14, 0, -1, vcc_lo
	v_cmp_le_u32_e32 vcc_lo, s21, v11
	v_cndmask_b32_e64 v15, 0, -1, vcc_lo
	v_cmp_le_u32_e32 vcc_lo, s20, v9
	;; [unrolled: 2-line block ×3, first 2 shown]
	v_cndmask_b32_e64 v16, 0, -1, vcc_lo
	v_cmp_eq_u32_e32 vcc_lo, s21, v11
	v_cndmask_b32_e64 v9, v16, v9, s0
	v_cndmask_b32_e32 v11, v15, v14, vcc_lo
	v_add_co_u32 v14, vcc_lo, v2, 1
	v_add_co_ci_u32_e32 v15, vcc_lo, 0, v6, vcc_lo
	v_cmp_ne_u32_e32 vcc_lo, 0, v11
	v_cndmask_b32_e32 v10, v15, v13, vcc_lo
	v_cndmask_b32_e32 v11, v14, v12, vcc_lo
	v_cmp_ne_u32_e32 vcc_lo, 0, v9
	v_cndmask_b32_e32 v10, v6, v10, vcc_lo
	v_cndmask_b32_e32 v9, v2, v11, vcc_lo
.LBB0_4:                                ;   in Loop: Header=BB0_2 Depth=1
	s_andn2_saveexec_b32 s0, s1
	s_cbranch_execz .LBB0_6
; %bb.5:                                ;   in Loop: Header=BB0_2 Depth=1
	v_cvt_f32_u32_e32 v2, s20
	s_sub_i32 s1, 0, s20
	v_rcp_iflag_f32_e32 v2, v2
	v_mul_f32_e32 v2, 0x4f7ffffe, v2
	v_cvt_u32_f32_e32 v2, v2
	v_mul_lo_u32 v6, s1, v2
	v_mul_hi_u32 v6, v2, v6
	v_add_nc_u32_e32 v2, v2, v6
	v_mul_hi_u32 v2, v7, v2
	v_mul_lo_u32 v6, v2, s20
	v_add_nc_u32_e32 v9, 1, v2
	v_sub_nc_u32_e32 v6, v7, v6
	v_subrev_nc_u32_e32 v10, s20, v6
	v_cmp_le_u32_e32 vcc_lo, s20, v6
	v_cndmask_b32_e32 v6, v6, v10, vcc_lo
	v_cndmask_b32_e32 v2, v2, v9, vcc_lo
	v_mov_b32_e32 v10, v5
	v_cmp_le_u32_e32 vcc_lo, s20, v6
	v_add_nc_u32_e32 v9, 1, v2
	v_cndmask_b32_e32 v9, v2, v9, vcc_lo
.LBB0_6:                                ;   in Loop: Header=BB0_2 Depth=1
	s_or_b32 exec_lo, exec_lo, s0
	s_load_dwordx2 s[0:1], s[6:7], 0x0
	v_mul_lo_u32 v2, v10, s20
	v_mul_lo_u32 v6, v9, s21
	v_mad_u64_u32 v[11:12], null, v9, s20, 0
	s_add_u32 s18, s18, 1
	s_addc_u32 s19, s19, 0
	s_add_u32 s6, s6, 8
	s_addc_u32 s7, s7, 0
	s_add_u32 s16, s16, 8
	s_addc_u32 s17, s17, 0
	v_add3_u32 v2, v12, v6, v2
	v_sub_co_u32 v6, vcc_lo, v7, v11
	v_sub_co_ci_u32_e32 v2, vcc_lo, v8, v2, vcc_lo
	s_waitcnt lgkmcnt(0)
	v_mul_lo_u32 v7, s1, v6
	v_mul_lo_u32 v2, s0, v2
	v_mad_u64_u32 v[3:4], null, s0, v6, v[3:4]
	v_cmp_ge_u64_e64 s0, s[18:19], s[10:11]
	s_and_b32 vcc_lo, exec_lo, s0
	v_add3_u32 v4, v7, v4, v2
	s_cbranch_vccnz .LBB0_8
; %bb.7:                                ;   in Loop: Header=BB0_2 Depth=1
	v_mov_b32_e32 v7, v9
	v_mov_b32_e32 v8, v10
	s_branch .LBB0_2
.LBB0_8:
	s_lshl_b64 s[0:1], s[10:11], 3
	v_mul_hi_u32 v2, 0xa3d70a4, v0
	s_add_u32 s0, s14, s0
	s_addc_u32 s1, s15, s1
	s_load_dwordx2 s[4:5], s[4:5], 0x20
	s_load_dwordx2 s[0:1], s[0:1], 0x0
                                        ; implicit-def: $vgpr26
                                        ; implicit-def: $vgpr25
                                        ; implicit-def: $vgpr27
                                        ; implicit-def: $vgpr15
	v_mul_u32_u24_e32 v2, 25, v2
	v_sub_nc_u32_e32 v17, v0, v2
	v_add_nc_u32_e32 v19, 25, v17
	v_add_nc_u32_e32 v18, 50, v17
	;; [unrolled: 1-line block ×4, first 2 shown]
	s_waitcnt lgkmcnt(0)
	v_cmp_gt_u64_e32 vcc_lo, s[4:5], v[9:10]
	v_mul_lo_u32 v0, s0, v10
	v_mul_lo_u32 v5, s1, v9
	v_mad_u64_u32 v[2:3], null, s0, v9, v[3:4]
	v_cmp_le_u64_e64 s0, s[4:5], v[9:10]
	v_add3_u32 v3, v5, v3, v0
	s_and_saveexec_b32 s1, s0
	s_xor_b32 s0, exec_lo, s1
; %bb.9:
	v_add_nc_u32_e32 v26, 25, v17
	v_add_nc_u32_e32 v25, 50, v17
	;; [unrolled: 1-line block ×4, first 2 shown]
; %bb.10:
	s_or_saveexec_b32 s1, s0
	v_lshlrev_b64 v[12:13], 2, v[2:3]
	v_add_nc_u32_e32 v21, 0x96, v17
	v_add_nc_u32_e32 v23, 0xfa, v17
	;; [unrolled: 1-line block ×4, first 2 shown]
                                        ; implicit-def: $vgpr7
                                        ; implicit-def: $vgpr28
                                        ; implicit-def: $vgpr8
                                        ; implicit-def: $vgpr11
                                        ; implicit-def: $vgpr9
                                        ; implicit-def: $vgpr14
                                        ; implicit-def: $vgpr10
                                        ; implicit-def: $vgpr29
                                        ; implicit-def: $vgpr0
                                        ; implicit-def: $vgpr6
                                        ; implicit-def: $vgpr34
                                        ; implicit-def: $vgpr37
                                        ; implicit-def: $vgpr33
                                        ; implicit-def: $vgpr30
                                        ; implicit-def: $vgpr35
                                        ; implicit-def: $vgpr31
                                        ; implicit-def: $vgpr36
                                        ; implicit-def: $vgpr32
                                        ; implicit-def: $vgpr2
                                        ; implicit-def: $vgpr4
                                        ; implicit-def: $vgpr42
                                        ; implicit-def: $vgpr40
                                        ; implicit-def: $vgpr43
                                        ; implicit-def: $vgpr38
                                        ; implicit-def: $vgpr44
                                        ; implicit-def: $vgpr39
                                        ; implicit-def: $vgpr45
                                        ; implicit-def: $vgpr41
                                        ; implicit-def: $vgpr3
                                        ; implicit-def: $vgpr5
	s_xor_b32 exec_lo, exec_lo, s1
	s_cbranch_execz .LBB0_12
; %bb.11:
	v_mad_u64_u32 v[2:3], null, s2, v17, 0
	v_mad_u64_u32 v[4:5], null, s2, v16, 0
	v_add_nc_u32_e32 v11, 0xe1, v17
	v_add_nc_u32_e32 v27, 0x12c, v17
	v_add_co_u32 v48, s0, s12, v12
	v_mov_b32_e32 v0, v3
	v_mad_u64_u32 v[9:10], null, s2, v11, 0
	v_add_co_ci_u32_e64 v49, s0, s13, v13, s0
	v_mad_u64_u32 v[6:7], null, s3, v17, v[0:1]
	v_mov_b32_e32 v0, v5
	v_mad_u64_u32 v[7:8], null, s2, v21, 0
	v_mad_u64_u32 v[25:26], null, s2, v27, 0
	;; [unrolled: 1-line block ×3, first 2 shown]
	v_mov_b32_e32 v3, v6
	v_add_nc_u32_e32 v35, 0xaf, v17
	v_mov_b32_e32 v0, v8
	v_mad_u64_u32 v[31:32], null, s2, v23, 0
	v_lshlrev_b64 v[2:3], 2, v[2:3]
	v_mov_b32_e32 v5, v14
	v_mad_u64_u32 v[14:15], null, s3, v21, v[0:1]
	v_mov_b32_e32 v0, v10
	v_add_nc_u32_e32 v37, 0x145, v17
	v_lshlrev_b64 v[4:5], 2, v[4:5]
	v_add_co_u32 v2, s0, v48, v2
	v_add_co_ci_u32_e64 v3, s0, v49, v3, s0
	v_mov_b32_e32 v8, v14
	v_add_co_u32 v14, s0, v48, v4
	v_mad_u64_u32 v[10:11], null, s3, v11, v[0:1]
	v_add_co_ci_u32_e64 v15, s0, v49, v5, s0
	v_lshlrev_b64 v[4:5], 2, v[7:8]
	v_mov_b32_e32 v0, v26
	v_mad_u64_u32 v[6:7], null, s2, v19, 0
	v_add_nc_u32_e32 v50, 0xc8, v17
	v_mad_u64_u32 v[44:45], null, s2, v24, 0
	v_mad_u64_u32 v[26:27], null, s3, v27, v[0:1]
	;; [unrolled: 1-line block ×3, first 2 shown]
	v_add_co_u32 v29, s0, v48, v4
	v_add_co_ci_u32_e64 v30, s0, v49, v5, s0
	v_mov_b32_e32 v0, v7
	v_lshlrev_b64 v[4:5], 2, v[9:10]
	v_mad_u64_u32 v[46:47], null, s2, v50, 0
	v_mad_u64_u32 v[7:8], null, s3, v19, v[0:1]
	v_mov_b32_e32 v0, v28
	v_mad_u64_u32 v[8:9], null, s2, v35, 0
	v_add_co_u32 v10, s0, v48, v4
	v_add_co_ci_u32_e64 v11, s0, v49, v5, s0
	v_lshlrev_b64 v[4:5], 2, v[25:26]
	v_mad_u64_u32 v[25:26], null, s3, v20, v[0:1]
	v_mov_b32_e32 v0, v9
	v_add_co_u32 v33, s0, v48, v4
	v_add_co_ci_u32_e64 v34, s0, v49, v5, s0
	v_lshlrev_b64 v[4:5], 2, v[6:7]
	v_mov_b32_e32 v28, v25
	v_mad_u64_u32 v[6:7], null, s3, v35, v[0:1]
	v_mov_b32_e32 v0, v32
	v_mad_u64_u32 v[35:36], null, s2, v37, 0
	v_add_co_u32 v25, s0, v48, v4
	v_add_co_ci_u32_e64 v26, s0, v49, v5, s0
	v_lshlrev_b64 v[4:5], 2, v[27:28]
	v_mad_u64_u32 v[27:28], null, s3, v23, v[0:1]
	v_mov_b32_e32 v9, v6
	v_mov_b32_e32 v0, v36
	v_add_co_u32 v6, s0, v48, v4
	v_add_co_ci_u32_e64 v7, s0, v49, v5, s0
	v_lshlrev_b64 v[4:5], 2, v[8:9]
	v_mad_u64_u32 v[8:9], null, s2, v18, 0
	v_mov_b32_e32 v32, v27
	v_add_co_u32 v42, s0, v48, v4
	v_lshlrev_b64 v[27:28], 2, v[31:32]
	v_mad_u64_u32 v[31:32], null, s3, v37, v[0:1]
	v_mov_b32_e32 v0, v9
	v_add_co_ci_u32_e64 v43, s0, v49, v5, s0
	v_add_co_u32 v27, s0, v48, v27
	v_mad_u64_u32 v[37:38], null, s3, v18, v[0:1]
	v_mov_b32_e32 v0, v45
	v_add_co_ci_u32_e64 v28, s0, v49, v28, s0
	v_mov_b32_e32 v36, v31
	s_clause 0x7
	global_load_dword v5, v[2:3], off
	global_load_dword v41, v[14:15], off
	;; [unrolled: 1-line block ×8, first 2 shown]
	v_mad_u64_u32 v[6:7], null, s3, v24, v[0:1]
	v_mov_b32_e32 v0, v47
	v_mad_u64_u32 v[10:11], null, s2, v22, 0
	global_load_dword v30, v[27:28], off
	v_add_nc_u32_e32 v27, 0x15e, v17
	v_mad_u64_u32 v[14:15], null, s3, v50, v[0:1]
	v_mov_b32_e32 v9, v37
	v_lshlrev_b64 v[2:3], 2, v[35:36]
	v_mad_u64_u32 v[25:26], null, s2, v27, 0
	v_mov_b32_e32 v0, v11
	v_lshlrev_b64 v[7:8], 2, v[8:9]
	v_mov_b32_e32 v47, v14
	v_add_co_u32 v2, s0, v48, v2
	v_mad_u64_u32 v[14:15], null, s3, v22, v[0:1]
	v_mov_b32_e32 v45, v6
	v_mov_b32_e32 v0, v26
	v_add_co_ci_u32_e64 v3, s0, v49, v3, s0
	v_add_co_u32 v6, s0, v48, v7
	v_add_co_ci_u32_e64 v7, s0, v49, v8, s0
	v_lshlrev_b64 v[8:9], 2, v[44:45]
	v_mad_u64_u32 v[26:27], null, s3, v27, v[0:1]
	v_mov_b32_e32 v11, v14
	v_lshlrev_b64 v[27:28], 2, v[46:47]
	v_add_co_u32 v8, s0, v48, v8
	v_lshlrev_b64 v[10:11], 2, v[10:11]
	v_add_co_ci_u32_e64 v9, s0, v49, v9, s0
	v_add_co_u32 v14, s0, v48, v27
	v_lshlrev_b64 v[25:26], 2, v[25:26]
	v_add_co_ci_u32_e64 v15, s0, v49, v28, s0
	v_add_co_u32 v10, s0, v48, v10
	v_add_co_ci_u32_e64 v11, s0, v49, v11, s0
	v_add_co_u32 v25, s0, v48, v25
	v_add_co_ci_u32_e64 v26, s0, v49, v26, s0
	s_clause 0x5
	global_load_dword v37, v[2:3], off
	global_load_dword v6, v[6:7], off
	;; [unrolled: 1-line block ×6, first 2 shown]
	v_mov_b32_e32 v15, v20
	v_mov_b32_e32 v27, v16
	;; [unrolled: 1-line block ×4, first 2 shown]
	s_waitcnt vmcnt(14)
	v_lshrrev_b32_e32 v3, 16, v5
	s_waitcnt vmcnt(13)
	v_lshrrev_b32_e32 v45, 16, v41
	;; [unrolled: 2-line block ×15, first 2 shown]
.LBB0_12:
	s_or_b32 exec_lo, exec_lo, s1
	v_mul_hi_u32 v46, 0xcccccccd, v1
	v_add_f16_e32 v48, v38, v39
	v_add_f16_e32 v47, v41, v5
	v_sub_f16_e32 v49, v45, v42
	v_add_f16_e32 v53, v40, v41
	v_sub_f16_e32 v50, v44, v43
	v_fma_f16 v48, -0.5, v48, v5
	v_add_f16_e32 v47, v39, v47
	v_lshrrev_b32_e32 v46, 2, v46
	v_fmac_f16_e32 v5, -0.5, v53
	v_add_f16_e32 v53, v45, v3
	v_fmamk_f16 v55, v49, 0x3b9c, v48
	v_fmac_f16_e32 v48, 0xbb9c, v49
	v_lshl_add_u32 v46, v46, 2, v46
	v_sub_f16_e32 v51, v41, v39
	v_sub_f16_e32 v52, v40, v38
	v_add_f16_e32 v47, v38, v47
	v_fmac_f16_e32 v55, 0x38b4, v50
	v_sub_nc_u32_e32 v1, v1, v46
	v_fmamk_f16 v46, v50, 0xbb9c, v5
	v_fmac_f16_e32 v48, 0xb8b4, v50
	v_add_f16_e32 v56, v43, v44
	v_fmac_f16_e32 v5, 0x3b9c, v50
	v_add_f16_e32 v50, v44, v53
	v_sub_f16_e32 v54, v39, v41
	v_add_f16_e32 v51, v52, v51
	v_add_f16_e32 v47, v40, v47
	v_sub_f16_e32 v52, v38, v40
	v_fma_f16 v58, -0.5, v56, v3
	v_sub_f16_e32 v40, v41, v40
	v_add_f16_e32 v41, v43, v50
	v_fmac_f16_e32 v46, 0x38b4, v49
	v_fmac_f16_e32 v5, 0xb8b4, v49
	v_sub_f16_e32 v38, v39, v38
	v_fmamk_f16 v59, v40, 0xbb9c, v58
	v_sub_f16_e32 v39, v45, v44
	v_sub_f16_e32 v49, v42, v43
	v_add_f16_e32 v50, v42, v45
	v_add_f16_e32 v41, v42, v41
	v_fmac_f16_e32 v58, 0x3b9c, v40
	v_sub_f16_e32 v44, v44, v45
	v_sub_f16_e32 v42, v43, v42
	v_add_f16_e32 v43, v30, v31
	v_fmac_f16_e32 v59, 0xb8b4, v38
	v_add_f16_e32 v39, v49, v39
	v_fmac_f16_e32 v3, -0.5, v50
	v_fmac_f16_e32 v58, 0x38b4, v38
	v_add_f16_e32 v42, v42, v44
	v_add_f16_e32 v44, v32, v4
	v_fma_f16 v43, -0.5, v43, v4
	v_sub_f16_e32 v49, v36, v34
	v_add_f16_e32 v53, v37, v32
	v_add_f16_e32 v52, v52, v54
	v_fmac_f16_e32 v59, 0x34f2, v39
	v_fmamk_f16 v45, v38, 0x3b9c, v3
	v_fmac_f16_e32 v58, 0x34f2, v39
	v_add_f16_e32 v39, v31, v44
	v_fmamk_f16 v44, v49, 0x3b9c, v43
	v_sub_f16_e32 v50, v35, v33
	v_fmac_f16_e32 v3, 0xbb9c, v38
	v_fmac_f16_e32 v4, -0.5, v53
	v_fmac_f16_e32 v43, 0xbb9c, v49
	v_add_f16_e32 v53, v36, v2
	v_fmac_f16_e32 v55, 0x34f2, v51
	v_fmac_f16_e32 v48, 0x34f2, v51
	;; [unrolled: 1-line block ×5, first 2 shown]
	v_sub_f16_e32 v51, v32, v31
	v_sub_f16_e32 v52, v37, v30
	v_add_f16_e32 v38, v30, v39
	v_fmac_f16_e32 v44, 0x38b4, v50
	v_fmac_f16_e32 v3, 0x38b4, v40
	v_fmamk_f16 v40, v50, 0xbb9c, v4
	v_fmac_f16_e32 v43, 0xb8b4, v50
	v_add_f16_e32 v54, v33, v35
	v_fmac_f16_e32 v4, 0x3b9c, v50
	v_add_f16_e32 v50, v35, v53
	v_add_f16_e32 v39, v52, v51
	;; [unrolled: 1-line block ×3, first 2 shown]
	v_sub_f16_e32 v51, v31, v32
	v_sub_f16_e32 v52, v30, v37
	v_fma_f16 v60, -0.5, v54, v2
	v_sub_f16_e32 v32, v32, v37
	v_add_f16_e32 v37, v33, v50
	v_fmac_f16_e32 v44, 0x34f2, v39
	v_fmac_f16_e32 v40, 0x38b4, v49
	;; [unrolled: 1-line block ×4, first 2 shown]
	v_fmamk_f16 v61, v32, 0xbb9c, v60
	v_sub_f16_e32 v30, v31, v30
	v_sub_f16_e32 v31, v36, v35
	;; [unrolled: 1-line block ×3, first 2 shown]
	v_add_f16_e32 v49, v34, v36
	v_add_f16_e32 v62, v34, v37
	v_fmac_f16_e32 v60, 0x3b9c, v32
	v_sub_f16_e32 v35, v35, v36
	v_sub_f16_e32 v33, v33, v34
	v_add_f16_e32 v34, v11, v14
	v_fmac_f16_e32 v61, 0xb8b4, v30
	v_add_f16_e32 v31, v39, v31
	v_fmac_f16_e32 v2, -0.5, v49
	v_fmac_f16_e32 v60, 0x38b4, v30
	v_add_f16_e32 v33, v33, v35
	v_add_f16_e32 v35, v29, v6
	v_fma_f16 v36, -0.5, v34, v6
	v_sub_f16_e32 v34, v10, v7
	v_add_f16_e32 v49, v28, v29
	v_fmac_f16_e32 v61, 0x34f2, v31
	v_fmamk_f16 v63, v30, 0x3b9c, v2
	v_fmac_f16_e32 v60, 0x34f2, v31
	v_mul_f16_e32 v64, 0x34f2, v33
	v_add_f16_e32 v31, v14, v35
	v_fmamk_f16 v33, v34, 0x3b9c, v36
	v_sub_f16_e32 v35, v9, v8
	v_fmac_f16_e32 v2, 0xbb9c, v30
	v_fmac_f16_e32 v6, -0.5, v49
	v_fmac_f16_e32 v36, 0xbb9c, v34
	v_add_f16_e32 v49, v10, v0
	v_fmac_f16_e32 v63, 0xb8b4, v32
	v_sub_f16_e32 v37, v29, v14
	v_sub_f16_e32 v39, v28, v11
	v_add_f16_e32 v30, v11, v31
	v_fmac_f16_e32 v33, 0x38b4, v35
	v_fmac_f16_e32 v2, 0x38b4, v32
	v_fmamk_f16 v32, v35, 0xbb9c, v6
	v_fmac_f16_e32 v36, 0xb8b4, v35
	v_fmac_f16_e32 v6, 0x3b9c, v35
	v_add_f16_e32 v35, v9, v49
	v_mul_u32_u24_e32 v1, 0x177, v1
	v_add_f16_e32 v31, v39, v37
	v_add_f16_e32 v30, v28, v30
	v_sub_f16_e32 v37, v14, v29
	v_sub_f16_e32 v39, v11, v28
	v_add_f16_e32 v50, v8, v9
	v_sub_f16_e32 v28, v29, v28
	v_add_f16_e32 v29, v8, v35
	v_fmac_f16_e32 v33, 0x34f2, v31
	v_fmac_f16_e32 v32, 0x38b4, v34
	v_fma_f16 v65, -0.5, v50, v0
	v_fmac_f16_e32 v36, 0x34f2, v31
	v_fmac_f16_e32 v6, 0xb8b4, v34
	v_sub_f16_e32 v11, v14, v11
	v_sub_f16_e32 v14, v10, v9
	;; [unrolled: 1-line block ×3, first 2 shown]
	v_add_f16_e32 v34, v7, v10
	v_add_f16_e32 v67, v7, v29
	v_sub_f16_e32 v9, v9, v10
	v_sub_f16_e32 v7, v8, v7
	v_lshlrev_b32_e32 v35, 1, v1
	v_add_f16_e32 v51, v52, v51
	v_add_f16_e32 v37, v39, v37
	v_fmamk_f16 v66, v28, 0xbb9c, v65
	v_fmac_f16_e32 v65, 0x3b9c, v28
	v_fmac_f16_e32 v0, -0.5, v34
	v_add_f16_e32 v7, v7, v9
	v_add_nc_u32_e32 v34, 0, v35
	v_fmac_f16_e32 v40, 0x34f2, v51
	v_fmac_f16_e32 v4, 0x34f2, v51
	;; [unrolled: 1-line block ×6, first 2 shown]
	v_fmamk_f16 v1, v11, 0x3b9c, v0
	v_fmac_f16_e32 v0, 0xbb9c, v11
	v_mul_f16_e32 v11, 0x34f2, v7
	v_mad_u32_u24 v68, v17, 10, v34
	v_pack_b32_f16 v8, v46, v5
	v_pack_b32_f16 v7, v47, v55
	v_mad_i32_i24 v69, v26, 10, v34
	v_pack_b32_f16 v5, v40, v4
	v_pack_b32_f16 v4, v38, v44
	v_mad_i32_i24 v44, v25, 10, v34
	v_pack_b32_f16 v10, v32, v6
	v_pack_b32_f16 v9, v30, v33
	ds_write_b64 v68, v[7:8]
	ds_write_b16 v68, v48 offset:8
	ds_write_b64 v69, v[4:5]
	ds_write_b16 v69, v43 offset:8
	;; [unrolled: 2-line block ×3, first 2 shown]
	v_lshlrev_b32_e32 v4, 3, v26
	v_add_f16_e32 v14, v31, v14
	v_lshlrev_b32_e32 v5, 3, v25
	v_mul_f16_e32 v42, 0x34f2, v42
	v_fmac_f16_e32 v1, 0xb8b4, v28
	v_sub_nc_u32_e32 v31, v69, v4
	v_and_b32_e32 v4, 0xff, v17
	v_fmac_f16_e32 v66, 0x34f2, v14
	v_fmac_f16_e32 v65, 0x34f2, v14
	;; [unrolled: 1-line block ×3, first 2 shown]
	v_lshlrev_b32_e32 v14, 1, v17
	v_sub_nc_u32_e32 v33, v44, v5
	v_pack_b32_f16 v3, v45, v3
	v_mul_lo_u16 v5, 0xcd, v4
	v_lshl_add_u32 v32, v15, 1, v34
	v_add_nc_u32_e32 v28, v34, v14
	v_add3_u32 v30, 0, v14, v35
	v_pk_add_f16 v4, v42, v3 op_sel_hi:[0,1]
	v_pack_b32_f16 v3, v41, v59
	v_lshrrev_b16 v40, 10, v5
	v_pack_b32_f16 v5, v1, v0
	v_and_b32_e32 v6, 0xff, v26
	v_lshl_add_u32 v29, v27, 1, v34
	s_waitcnt lgkmcnt(0)
	s_barrier
	buffer_gl0_inv
	ds_read_u16 v37, v28
	ds_read_u16 v51, v29
	ds_read_u16 v46, v30 offset:250
	ds_read_u16 v50, v30 offset:300
	;; [unrolled: 1-line block ×3, first 2 shown]
	ds_read_u16 v36, v33
	ds_read_u16 v49, v30 offset:500
	ds_read_u16 v52, v30 offset:450
	;; [unrolled: 1-line block ×3, first 2 shown]
	ds_read_u16 v56, v32
	ds_read_u16 v39, v31
	ds_read_u16 v53, v30 offset:700
	ds_read_u16 v55, v30 offset:650
	;; [unrolled: 1-line block ×4, first 2 shown]
	s_waitcnt lgkmcnt(0)
	s_barrier
	buffer_gl0_inv
	ds_write_b64 v68, v[3:4]
	v_mul_lo_u16 v4, v40, 5
	v_pk_add_f16 v3, v11, v5 op_sel_hi:[0,1]
	v_mul_lo_u16 v5, 0xcd, v6
	v_and_b32_e32 v38, 0xff, v25
	v_pack_b32_f16 v2, v63, v2
	v_sub_nc_u16 v41, v17, v4
	v_pack_b32_f16 v0, v62, v61
	v_lshrrev_b16 v42, 10, v5
	v_mul_lo_u16 v4, 0xcd, v38
	v_pk_add_f16 v1, v64, v2 op_sel_hi:[0,1]
	v_pack_b32_f16 v2, v67, v66
	v_mov_b32_e32 v8, 4
	ds_write_b16 v68, v58 offset:8
	ds_write_b64 v69, v[0:1]
	ds_write_b16 v69, v60 offset:8
	ds_write_b64 v44, v[2:3]
	v_mul_lo_u16 v1, v42, 5
	ds_write_b16 v44, v65 offset:8
	v_lshrrev_b16 v44, 10, v4
	v_lshlrev_b32_sdwa v0, v8, v41 dst_sel:DWORD dst_unused:UNUSED_PAD src0_sel:DWORD src1_sel:BYTE_0
	s_waitcnt lgkmcnt(0)
	v_sub_nc_u16 v43, v26, v1
	s_barrier
	v_mul_lo_u16 v9, v44, 5
	buffer_gl0_inv
	global_load_dwordx4 v[0:3], v0, s[8:9]
	v_lshlrev_b32_sdwa v4, v8, v43 dst_sel:DWORD dst_unused:UNUSED_PAD src0_sel:DWORD src1_sel:BYTE_0
	v_sub_nc_u16 v45, v25, v9
	global_load_dwordx4 v[4:7], v4, s[8:9]
	v_lshlrev_b32_sdwa v8, v8, v45 dst_sel:DWORD dst_unused:UNUSED_PAD src0_sel:DWORD src1_sel:BYTE_0
	global_load_dwordx4 v[8:11], v8, s[8:9]
	ds_read_u16 v58, v29
	ds_read_u16 v59, v30 offset:300
	ds_read_u16 v60, v30 offset:450
	;; [unrolled: 1-line block ×3, first 2 shown]
	ds_read_u16 v62, v32
	ds_read_u16 v63, v30 offset:350
	ds_read_u16 v64, v30 offset:500
	;; [unrolled: 1-line block ×6, first 2 shown]
	ds_read_u16 v69, v33
	ds_read_u16 v70, v31
	ds_read_u16 v71, v30 offset:550
	ds_read_u16 v72, v28
	s_waitcnt vmcnt(0) lgkmcnt(0)
	s_barrier
	buffer_gl0_inv
	v_mul_f16_sdwa v73, v58, v0 dst_sel:DWORD dst_unused:UNUSED_PAD src0_sel:DWORD src1_sel:WORD_1
	v_mul_f16_sdwa v74, v51, v0 dst_sel:DWORD dst_unused:UNUSED_PAD src0_sel:DWORD src1_sel:WORD_1
	;; [unrolled: 1-line block ×12, first 2 shown]
	v_fma_f16 v51, v51, v0, -v73
	v_mul_f16_sdwa v73, v64, v6 dst_sel:DWORD dst_unused:UNUSED_PAD src0_sel:DWORD src1_sel:WORD_1
	v_fmac_f16_e32 v74, v58, v0
	v_mul_f16_sdwa v0, v49, v6 dst_sel:DWORD dst_unused:UNUSED_PAD src0_sel:DWORD src1_sel:WORD_1
	v_fma_f16 v50, v50, v1, -v75
	v_mul_f16_sdwa v58, v67, v7 dst_sel:DWORD dst_unused:UNUSED_PAD src0_sel:DWORD src1_sel:WORD_1
	v_fmac_f16_e32 v76, v59, v1
	v_mul_f16_sdwa v1, v55, v7 dst_sel:DWORD dst_unused:UNUSED_PAD src0_sel:DWORD src1_sel:WORD_1
	;; [unrolled: 4-line block ×4, first 2 shown]
	v_mul_f16_sdwa v61, v71, v10 dst_sel:DWORD dst_unused:UNUSED_PAD src0_sel:DWORD src1_sel:WORD_1
	v_mul_f16_sdwa v75, v54, v10 dst_sel:DWORD dst_unused:UNUSED_PAD src0_sel:DWORD src1_sel:WORD_1
	;; [unrolled: 1-line block ×3, first 2 shown]
	v_fma_f16 v56, v56, v4, -v81
	v_fmac_f16_e32 v82, v62, v4
	v_fma_f16 v4, v48, v5, -v83
	v_fmac_f16_e32 v84, v63, v5
	v_fma_f16 v5, v49, v6, -v73
	v_mul_f16_sdwa v79, v53, v11 dst_sel:DWORD dst_unused:UNUSED_PAD src0_sel:DWORD src1_sel:WORD_1
	v_fmac_f16_e32 v0, v64, v6
	v_fma_f16 v6, v55, v7, -v58
	v_fmac_f16_e32 v1, v67, v7
	v_fma_f16 v7, v46, v8, -v59
	;; [unrolled: 2-line block ×5, first 2 shown]
	v_add_f16_e32 v47, v50, v52
	v_add_f16_e32 v48, v51, v57
	v_sub_f16_e32 v53, v50, v51
	v_sub_f16_e32 v54, v52, v57
	v_add_f16_e32 v59, v76, v78
	v_add_f16_e32 v60, v74, v80
	;; [unrolled: 1-line block ×3, first 2 shown]
	v_fmac_f16_e32 v79, v68, v11
	v_sub_f16_e32 v11, v51, v50
	v_sub_f16_e32 v46, v57, v52
	v_add_f16_e32 v49, v37, v51
	v_sub_f16_e32 v55, v74, v76
	v_sub_f16_e32 v58, v80, v78
	v_add_f16_e32 v61, v72, v74
	v_sub_f16_e32 v62, v76, v74
	v_sub_f16_e32 v63, v78, v80
	;; [unrolled: 1-line block ×4, first 2 shown]
	v_add_f16_e32 v67, v56, v6
	v_sub_f16_e32 v77, v50, v52
	v_sub_f16_e32 v81, v76, v78
	;; [unrolled: 1-line block ×4, first 2 shown]
	v_fma_f16 v47, -0.5, v47, v37
	v_fmac_f16_e32 v37, -0.5, v48
	v_add_f16_e32 v48, v53, v54
	v_fma_f16 v54, -0.5, v59, v72
	v_fmac_f16_e32 v72, -0.5, v60
	v_fma_f16 v59, -0.5, v66, v39
	v_add_f16_e32 v68, v39, v56
	v_sub_f16_e32 v74, v74, v80
	v_add_f16_e32 v11, v11, v46
	v_sub_f16_e32 v46, v84, v0
	v_add_f16_e32 v53, v55, v58
	v_add_f16_e32 v55, v62, v63
	;; [unrolled: 1-line block ×3, first 2 shown]
	v_fmac_f16_e32 v39, -0.5, v67
	v_fmamk_f16 v62, v81, 0xbb9c, v37
	v_fmac_f16_e32 v37, 0x3b9c, v81
	v_fmamk_f16 v63, v51, 0xbb9c, v54
	v_fmac_f16_e32 v54, 0x3b9c, v51
	;; [unrolled: 2-line block ×4, first 2 shown]
	v_add_f16_e32 v49, v49, v50
	v_fmamk_f16 v66, v46, 0xbb9c, v39
	v_fmac_f16_e32 v39, 0x3b9c, v46
	v_fmac_f16_e32 v62, 0x38b4, v74
	;; [unrolled: 1-line block ×9, first 2 shown]
	v_add_f16_e32 v46, v70, v82
	v_add_f16_e32 v50, v61, v76
	;; [unrolled: 1-line block ×4, first 2 shown]
	v_fmamk_f16 v52, v74, 0x3b9c, v47
	v_fmac_f16_e32 v47, 0xbb9c, v74
	v_fmac_f16_e32 v62, 0x34f2, v48
	;; [unrolled: 1-line block ×7, first 2 shown]
	v_sub_f16_e32 v48, v82, v84
	v_sub_f16_e32 v51, v1, v0
	v_add_f16_e32 v53, v84, v0
	v_add_f16_e32 v46, v46, v84
	;; [unrolled: 1-line block ×3, first 2 shown]
	v_sub_f16_e32 v71, v4, v56
	v_sub_f16_e32 v73, v5, v6
	v_add_f16_e32 v61, v61, v5
	v_fmac_f16_e32 v52, 0x38b4, v81
	v_fmac_f16_e32 v47, 0xb8b4, v81
	v_sub_f16_e32 v4, v4, v5
	v_add_f16_e32 v5, v48, v51
	v_fma_f16 v51, -0.5, v53, v70
	v_add_f16_e32 v46, v46, v0
	v_fmac_f16_e32 v70, -0.5, v55
	v_fmac_f16_e32 v52, 0x34f2, v11
	v_fmac_f16_e32 v47, 0x34f2, v11
	v_add_f16_e32 v11, v61, v6
	v_sub_f16_e32 v6, v56, v6
	v_sub_f16_e32 v48, v84, v82
	v_add_f16_e32 v53, v46, v1
	v_sub_f16_e32 v0, v0, v1
	v_fmamk_f16 v1, v4, 0x3b9c, v70
	v_fmac_f16_e32 v70, 0xbb9c, v4
	v_fmamk_f16 v55, v6, 0xbb9c, v51
	v_fmac_f16_e32 v51, 0x3b9c, v6
	v_add_f16_e32 v0, v48, v0
	v_fmac_f16_e32 v1, 0xb8b4, v6
	v_fmac_f16_e32 v70, 0x38b4, v6
	v_add_f16_e32 v49, v49, v57
	v_fmac_f16_e32 v55, 0xb8b4, v4
	;; [unrolled: 3-line block ×3, first 2 shown]
	v_fmac_f16_e32 v70, 0x34f2, v0
	v_add_f16_e32 v0, v7, v10
	v_sub_f16_e32 v6, v7, v8
	v_sub_f16_e32 v46, v10, v9
	v_add_f16_e32 v57, v36, v7
	v_fmac_f16_e32 v55, 0x34f2, v5
	v_fmac_f16_e32 v51, 0x34f2, v5
	v_fma_f16 v4, -0.5, v4, v36
	v_sub_f16_e32 v5, v2, v79
	v_sub_f16_e32 v56, v3, v75
	v_fmac_f16_e32 v36, -0.5, v0
	v_add_f16_e32 v0, v6, v46
	v_add_f16_e32 v6, v57, v8
	v_fmac_f16_e32 v65, 0x34f2, v58
	v_fmac_f16_e32 v59, 0x34f2, v58
	v_fmamk_f16 v48, v5, 0x3b9c, v4
	v_fmac_f16_e32 v4, 0xbb9c, v5
	v_fmamk_f16 v58, v56, 0xbb9c, v36
	v_fmac_f16_e32 v36, 0x3b9c, v56
	v_add_f16_e32 v6, v6, v9
	v_fmac_f16_e32 v48, 0x38b4, v56
	v_sub_f16_e32 v46, v8, v7
	v_sub_f16_e32 v57, v9, v10
	v_fmac_f16_e32 v4, 0xb8b4, v56
	v_fmac_f16_e32 v58, 0x38b4, v5
	;; [unrolled: 1-line block ×3, first 2 shown]
	v_add_f16_e32 v5, v6, v10
	v_sub_f16_e32 v6, v7, v10
	v_add_f16_e32 v7, v69, v2
	v_add_f16_e32 v46, v46, v57
	v_fmac_f16_e32 v48, 0x34f2, v0
	v_fmac_f16_e32 v4, 0x34f2, v0
	v_add_f16_e32 v0, v3, v75
	v_add_f16_e32 v7, v7, v3
	;; [unrolled: 1-line block ×4, first 2 shown]
	v_fmac_f16_e32 v66, 0x38b4, v83
	v_fmac_f16_e32 v39, 0xb8b4, v83
	;; [unrolled: 1-line block ×4, first 2 shown]
	v_sub_f16_e32 v46, v2, v3
	v_sub_f16_e32 v56, v79, v75
	v_sub_f16_e32 v8, v8, v9
	v_add_f16_e32 v7, v7, v75
	v_fma_f16 v57, -0.5, v0, v69
	v_fmac_f16_e32 v69, -0.5, v10
	v_fmac_f16_e32 v66, 0x34f2, v60
	v_fmac_f16_e32 v39, 0x34f2, v60
	v_add_f16_e32 v0, v46, v56
	v_sub_f16_e32 v2, v3, v2
	v_add_f16_e32 v3, v7, v79
	v_fmamk_f16 v56, v6, 0xbb9c, v57
	v_fmac_f16_e32 v57, 0x3b9c, v6
	v_sub_f16_e32 v7, v75, v79
	v_fmamk_f16 v60, v8, 0x3b9c, v69
	v_fmac_f16_e32 v69, 0xbb9c, v8
	v_fmac_f16_e32 v56, 0xb8b4, v8
	;; [unrolled: 1-line block ×3, first 2 shown]
	v_add_f16_e32 v2, v2, v7
	v_fmac_f16_e32 v60, 0xb8b4, v6
	v_fmac_f16_e32 v69, 0x38b4, v6
	v_and_b32_e32 v6, 0xffff, v40
	v_mov_b32_e32 v7, 1
	v_fmac_f16_e32 v56, 0x34f2, v0
	v_fmac_f16_e32 v57, 0x34f2, v0
	v_and_b32_e32 v8, 0xffff, v42
	v_mad_u32_u24 v0, v6, 50, 0
	v_lshlrev_b32_sdwa v6, v7, v41 dst_sel:DWORD dst_unused:UNUSED_PAD src0_sel:DWORD src1_sel:BYTE_0
	v_fmac_f16_e32 v60, 0x34f2, v2
	v_fmac_f16_e32 v69, 0x34f2, v2
	v_mad_u32_u24 v2, v8, 50, 0
	v_and_b32_e32 v8, 0xffff, v44
	v_add3_u32 v0, v0, v6, v35
	v_lshlrev_b32_sdwa v6, v7, v43 dst_sel:DWORD dst_unused:UNUSED_PAD src0_sel:DWORD src1_sel:BYTE_0
	v_add_f16_e32 v50, v50, v78
	v_lshlrev_b32_sdwa v7, v7, v45 dst_sel:DWORD dst_unused:UNUSED_PAD src0_sel:DWORD src1_sel:BYTE_0
	ds_write_b16 v0, v49
	ds_write_b16 v0, v52 offset:10
	v_add3_u32 v2, v2, v6, v35
	v_mad_u32_u24 v6, v8, 50, 0
	v_add_f16_e32 v50, v50, v80
	v_mov_b32_e32 v8, 0
	ds_write_b16 v0, v62 offset:20
	ds_write_b16 v0, v37 offset:30
	;; [unrolled: 1-line block ×3, first 2 shown]
	ds_write_b16 v2, v11
	v_add3_u32 v6, v6, v7, v35
	v_lshlrev_b32_e32 v7, 2, v17
	ds_write_b16 v2, v65 offset:10
	ds_write_b16 v2, v66 offset:20
	;; [unrolled: 1-line block ×4, first 2 shown]
	ds_write_b16 v6, v5
	ds_write_b16 v6, v48 offset:10
	ds_write_b16 v6, v58 offset:20
	;; [unrolled: 1-line block ×4, first 2 shown]
	s_waitcnt lgkmcnt(0)
	s_barrier
	buffer_gl0_inv
	ds_read_u16 v10, v28
	ds_read_u16 v44, v29
	ds_read_u16 v36, v30 offset:250
	ds_read_u16 v42, v30 offset:300
	;; [unrolled: 1-line block ×3, first 2 shown]
	ds_read_u16 v9, v33
	ds_read_u16 v41, v30 offset:500
	ds_read_u16 v47, v30 offset:450
	;; [unrolled: 1-line block ×3, first 2 shown]
	ds_read_u16 v46, v32
	ds_read_u16 v11, v31
	ds_read_u16 v39, v30 offset:700
	ds_read_u16 v45, v30 offset:650
	;; [unrolled: 1-line block ×4, first 2 shown]
	s_waitcnt lgkmcnt(0)
	s_barrier
	buffer_gl0_inv
	ds_write_b16 v0, v50
	ds_write_b16 v0, v63 offset:10
	ds_write_b16 v0, v64 offset:20
	;; [unrolled: 1-line block ×4, first 2 shown]
	ds_write_b16 v2, v53
	ds_write_b16 v2, v55 offset:10
	ds_write_b16 v2, v1 offset:20
	;; [unrolled: 1-line block ×4, first 2 shown]
	v_mul_lo_u16 v2, v38, 41
	v_lshlrev_b64 v[0:1], 2, v[7:8]
	ds_write_b16 v6, v3
	ds_write_b16 v6, v56 offset:10
	ds_write_b16 v6, v60 offset:20
	;; [unrolled: 1-line block ×4, first 2 shown]
	s_waitcnt lgkmcnt(0)
	v_lshrrev_b16 v2, 10, v2
	s_barrier
	v_add_co_u32 v0, s0, s8, v0
	v_add_co_ci_u32_e64 v1, s0, s9, v1, s0
	v_mul_lo_u16 v2, v2, 25
	buffer_gl0_inv
	global_load_dwordx4 v[4:7], v[0:1], off offset:80
	v_sub_nc_u16 v0, v25, v2
	v_and_b32_e32 v35, 0xff, v0
	v_lshlrev_b32_e32 v0, 4, v35
	global_load_dwordx4 v[0:3], v0, s[8:9] offset:80
	ds_read_u16 v38, v29
	ds_read_u16 v49, v30 offset:300
	ds_read_u16 v50, v30 offset:450
	;; [unrolled: 1-line block ×3, first 2 shown]
	ds_read_u16 v52, v32
	ds_read_u16 v53, v30 offset:350
	ds_read_u16 v54, v30 offset:500
	;; [unrolled: 1-line block ×6, first 2 shown]
	ds_read_u16 v59, v33
	ds_read_u16 v60, v31
	ds_read_u16 v61, v30 offset:550
	ds_read_u16 v62, v28
	s_waitcnt vmcnt(0) lgkmcnt(0)
	s_barrier
	buffer_gl0_inv
	v_mul_f16_sdwa v63, v38, v4 dst_sel:DWORD dst_unused:UNUSED_PAD src0_sel:DWORD src1_sel:WORD_1
	v_mul_f16_sdwa v64, v44, v4 dst_sel:DWORD dst_unused:UNUSED_PAD src0_sel:DWORD src1_sel:WORD_1
	;; [unrolled: 1-line block ×16, first 2 shown]
	v_fma_f16 v44, v44, v4, -v63
	v_mul_f16_sdwa v79, v56, v0 dst_sel:DWORD dst_unused:UNUSED_PAD src0_sel:DWORD src1_sel:WORD_1
	v_mul_f16_sdwa v80, v36, v0 dst_sel:DWORD dst_unused:UNUSED_PAD src0_sel:DWORD src1_sel:WORD_1
	v_mul_f16_sdwa v81, v55, v1 dst_sel:DWORD dst_unused:UNUSED_PAD src0_sel:DWORD src1_sel:WORD_1
	v_mul_f16_sdwa v82, v37, v1 dst_sel:DWORD dst_unused:UNUSED_PAD src0_sel:DWORD src1_sel:WORD_1
	v_mul_f16_sdwa v83, v61, v2 dst_sel:DWORD dst_unused:UNUSED_PAD src0_sel:DWORD src1_sel:WORD_1
	v_fmac_f16_e32 v64, v38, v4
	v_fma_f16 v42, v42, v5, -v65
	v_mul_f16_sdwa v65, v39, v3 dst_sel:DWORD dst_unused:UNUSED_PAD src0_sel:DWORD src1_sel:WORD_1
	v_fmac_f16_e32 v66, v49, v5
	v_fma_f16 v47, v47, v6, -v67
	v_fmac_f16_e32 v68, v50, v6
	v_fmac_f16_e32 v70, v51, v7
	v_fma_f16 v46, v46, v4, -v71
	v_fmac_f16_e32 v72, v52, v4
	v_fma_f16 v4, v40, v5, -v73
	;; [unrolled: 2-line block ×4, first 2 shown]
	v_mul_f16_sdwa v63, v43, v2 dst_sel:DWORD dst_unused:UNUSED_PAD src0_sel:DWORD src1_sel:WORD_1
	v_mul_f16_sdwa v38, v58, v3 dst_sel:DWORD dst_unused:UNUSED_PAD src0_sel:DWORD src1_sel:WORD_1
	v_fma_f16 v48, v48, v7, -v69
	v_fmac_f16_e32 v78, v57, v7
	v_fma_f16 v7, v36, v0, -v79
	v_fmac_f16_e32 v80, v56, v0
	;; [unrolled: 2-line block ×4, first 2 shown]
	v_sub_f16_e32 v43, v64, v66
	v_sub_f16_e32 v45, v70, v68
	;; [unrolled: 1-line block ×4, first 2 shown]
	v_add_f16_e32 v58, v11, v46
	v_fmac_f16_e32 v63, v61, v2
	v_fma_f16 v2, v39, v3, -v38
	v_add_f16_e32 v3, v10, v44
	v_add_f16_e32 v36, v42, v47
	;; [unrolled: 1-line block ×3, first 2 shown]
	v_sub_f16_e32 v40, v42, v44
	v_sub_f16_e32 v41, v47, v48
	v_add_f16_e32 v49, v66, v68
	v_add_f16_e32 v51, v62, v64
	;; [unrolled: 1-line block ×4, first 2 shown]
	v_sub_f16_e32 v61, v4, v46
	v_add_f16_e32 v77, v60, v72
	v_add_f16_e32 v43, v43, v45
	v_sub_f16_e32 v45, v4, v5
	v_add_f16_e32 v54, v54, v55
	v_add_f16_e32 v55, v0, v1
	;; [unrolled: 1-line block ×3, first 2 shown]
	v_sub_f16_e32 v37, v44, v42
	v_sub_f16_e32 v38, v48, v47
	v_add_f16_e32 v50, v64, v70
	v_sub_f16_e32 v52, v66, v64
	v_sub_f16_e32 v53, v68, v70
	;; [unrolled: 1-line block ×5, first 2 shown]
	v_fma_f16 v36, -0.5, v36, v10
	v_fmac_f16_e32 v10, -0.5, v39
	v_sub_f16_e32 v39, v42, v47
	v_add_f16_e32 v40, v40, v41
	v_sub_f16_e32 v41, v66, v68
	v_fma_f16 v49, -0.5, v49, v62
	v_sub_f16_e32 v44, v44, v48
	v_sub_f16_e32 v64, v64, v70
	v_fma_f16 v56, -0.5, v56, v11
	v_fmac_f16_e32 v11, -0.5, v57
	v_sub_f16_e32 v57, v80, v65
	v_add_f16_e32 v3, v3, v42
	v_add_f16_e32 v42, v51, v66
	;; [unrolled: 1-line block ×3, first 2 shown]
	v_fma_f16 v55, -0.5, v55, v9
	v_add_f16_e32 v4, v4, v5
	v_sub_f16_e32 v83, v7, v0
	v_add_f16_e32 v37, v37, v38
	v_sub_f16_e32 v38, v2, v1
	v_fmac_f16_e32 v62, -0.5, v50
	v_sub_f16_e32 v46, v46, v6
	v_add_f16_e32 v52, v52, v53
	v_add_f16_e32 v53, v9, v7
	;; [unrolled: 1-line block ×5, first 2 shown]
	v_sub_f16_e32 v71, v82, v63
	v_add_f16_e32 v3, v3, v47
	v_add_f16_e32 v5, v51, v76
	v_fmamk_f16 v47, v64, 0x3b9c, v36
	v_fmac_f16_e32 v36, 0xbb9c, v64
	v_fmamk_f16 v51, v41, 0xbb9c, v10
	v_fmac_f16_e32 v10, 0x3b9c, v41
	;; [unrolled: 2-line block ×3, first 2 shown]
	v_add_f16_e32 v4, v4, v6
	v_fmamk_f16 v6, v57, 0x3b9c, v55
	v_fmac_f16_e32 v55, 0xbb9c, v57
	v_add_f16_e32 v38, v83, v38
	v_fmamk_f16 v66, v39, 0x3b9c, v62
	v_fmac_f16_e32 v62, 0xbb9c, v39
	v_fmac_f16_e32 v47, 0x38b4, v41
	v_fmac_f16_e32 v36, 0xb8b4, v41
	v_fmac_f16_e32 v51, 0x38b4, v64
	v_fmac_f16_e32 v10, 0xb8b4, v64
	v_fmac_f16_e32 v58, 0xb8b4, v39
	v_fmac_f16_e32 v49, 0x38b4, v39
	v_add_f16_e32 v39, v5, v78
	v_add_f16_e32 v5, v53, v0
	v_fmac_f16_e32 v9, -0.5, v67
	v_fmac_f16_e32 v6, 0x38b4, v71
	v_fmac_f16_e32 v55, 0xb8b4, v71
	v_fmac_f16_e32 v47, 0x34f2, v37
	v_fmac_f16_e32 v36, 0x34f2, v37
	v_fmac_f16_e32 v51, 0x34f2, v40
	v_fmac_f16_e32 v10, 0x34f2, v40
	v_add_f16_e32 v5, v5, v1
	v_fmac_f16_e32 v6, 0x34f2, v38
	v_sub_f16_e32 v37, v0, v7
	v_sub_f16_e32 v40, v1, v2
	v_fmac_f16_e32 v55, 0x34f2, v38
	v_fmamk_f16 v38, v71, 0xbb9c, v9
	v_fmac_f16_e32 v9, 0x3b9c, v71
	v_add_f16_e32 v75, v72, v78
	v_sub_f16_e32 v79, v74, v72
	v_sub_f16_e32 v72, v72, v78
	v_add_f16_e32 v42, v42, v68
	v_add_f16_e32 v5, v5, v2
	v_sub_f16_e32 v2, v7, v2
	v_add_f16_e32 v7, v37, v40
	v_add_f16_e32 v37, v82, v63
	v_fmac_f16_e32 v38, 0x38b4, v57
	v_fmac_f16_e32 v9, 0xb8b4, v57
	v_sub_f16_e32 v0, v0, v1
	v_add_f16_e32 v1, v80, v65
	v_sub_f16_e32 v50, v74, v76
	v_fmamk_f16 v68, v72, 0x3b9c, v56
	v_add_f16_e32 v41, v42, v70
	v_add_f16_e32 v40, v59, v80
	v_fma_f16 v42, -0.5, v37, v59
	v_fmac_f16_e32 v38, 0x34f2, v7
	v_fmac_f16_e32 v9, 0x34f2, v7
	v_fmac_f16_e32 v59, -0.5, v1
	v_sub_f16_e32 v1, v80, v82
	v_sub_f16_e32 v7, v65, v63
	v_add_f16_e32 v73, v74, v76
	v_fmamk_f16 v74, v50, 0xbb9c, v11
	v_fmac_f16_e32 v11, 0x3b9c, v50
	v_fmac_f16_e32 v56, 0xbb9c, v72
	;; [unrolled: 1-line block ×7, first 2 shown]
	v_add_f16_e32 v37, v40, v82
	v_sub_f16_e32 v40, v82, v80
	v_fmamk_f16 v43, v2, 0xbb9c, v42
	v_fmac_f16_e32 v42, 0x3b9c, v2
	v_add_f16_e32 v1, v1, v7
	v_fmamk_f16 v7, v0, 0x3b9c, v59
	v_sub_f16_e32 v44, v63, v65
	v_fmac_f16_e32 v59, 0xbb9c, v0
	v_fmac_f16_e32 v74, 0x38b4, v72
	;; [unrolled: 1-line block ×4, first 2 shown]
	v_add_f16_e32 v3, v3, v48
	v_fmac_f16_e32 v68, 0x34f2, v54
	v_add_f16_e32 v37, v37, v63
	v_fmac_f16_e32 v43, 0xb8b4, v0
	v_fmac_f16_e32 v42, 0x38b4, v0
	;; [unrolled: 1-line block ×3, first 2 shown]
	v_add_f16_e32 v0, v40, v44
	v_fmac_f16_e32 v59, 0x38b4, v2
	v_fmac_f16_e32 v74, 0x34f2, v61
	v_fmac_f16_e32 v11, 0x34f2, v61
	v_fmac_f16_e32 v56, 0x34f2, v54
	v_lshl_add_u32 v44, v35, 1, v34
	v_add_f16_e32 v40, v37, v65
	v_fmac_f16_e32 v43, 0x34f2, v1
	v_fmac_f16_e32 v42, 0x34f2, v1
	v_fmac_f16_e32 v7, 0x34f2, v0
	v_fmac_f16_e32 v59, 0x34f2, v0
	ds_write_b16 v30, v3
	ds_write_b16 v30, v47 offset:50
	ds_write_b16 v30, v51 offset:100
	;; [unrolled: 1-line block ×14, first 2 shown]
	s_waitcnt lgkmcnt(0)
	s_barrier
	buffer_gl0_inv
	ds_read_u16 v3, v28
	ds_read_u16 v6, v30 offset:350
	ds_read_u16 v11, v30 offset:400
	;; [unrolled: 1-line block ×6, first 2 shown]
	ds_read_u16 v5, v29
	ds_read_u16 v4, v30 offset:550
	ds_read_u16 v9, v30 offset:600
	;; [unrolled: 1-line block ×3, first 2 shown]
	ds_read_u16 v1, v33
	ds_read_u16 v10, v32
	;; [unrolled: 1-line block ×3, first 2 shown]
	ds_read_u16 v38, v30 offset:700
	v_fma_f16 v73, -0.5, v73, v60
	v_fmac_f16_e32 v60, -0.5, v75
	v_sub_f16_e32 v81, v76, v78
	v_fmac_f16_e32 v66, 0x34f2, v52
	v_fmac_f16_e32 v62, 0x34f2, v52
	v_fmamk_f16 v76, v46, 0xbb9c, v73
	v_fmac_f16_e32 v73, 0x3b9c, v46
	v_fmamk_f16 v77, v45, 0x3b9c, v60
	v_fmac_f16_e32 v60, 0xbb9c, v45
	v_add_f16_e32 v75, v79, v81
	v_fmac_f16_e32 v76, 0xb8b4, v45
	v_fmac_f16_e32 v73, 0x38b4, v45
	;; [unrolled: 1-line block ×4, first 2 shown]
	s_waitcnt lgkmcnt(0)
	v_fmac_f16_e32 v76, 0x34f2, v69
	v_fmac_f16_e32 v73, 0x34f2, v69
	;; [unrolled: 1-line block ×4, first 2 shown]
	s_barrier
	buffer_gl0_inv
	ds_write_b16 v30, v41
	ds_write_b16 v30, v58 offset:50
	ds_write_b16 v30, v66 offset:100
	;; [unrolled: 1-line block ×14, first 2 shown]
	s_waitcnt lgkmcnt(0)
	s_barrier
	buffer_gl0_inv
	s_and_saveexec_b32 s0, vcc_lo
	s_cbranch_execz .LBB0_14
; %bb.13:
	v_lshlrev_b32_e32 v7, 1, v15
	v_mov_b32_e32 v15, v8
	v_mad_u64_u32 v[45:46], null, s2, v23, 0
	v_mul_hi_u32 v53, 0x10624dd3, v18
	v_lshlrev_b64 v[39:40], 2, v[7:8]
	v_lshlrev_b64 v[14:15], 2, v[14:15]
	v_lshlrev_b32_e32 v7, 1, v27
	v_mad_u64_u32 v[47:48], null, s2, v19, 0
	v_mul_hi_u32 v54, 0x10624dd3, v16
	v_add_co_u32 v39, vcc_lo, s8, v39
	v_add_co_ci_u32_e32 v40, vcc_lo, s9, v40, vcc_lo
	v_add_co_u32 v14, vcc_lo, s8, v14
	v_add_co_ci_u32_e32 v15, vcc_lo, s9, v15, vcc_lo
	v_lshlrev_b64 v[41:42], 2, v[7:8]
	s_clause 0x1
	global_load_dwordx2 v[39:40], v[39:40], off offset:480
	global_load_dwordx2 v[14:15], v[14:15], off offset:480
	v_lshlrev_b32_e32 v7, 1, v25
	v_mad_u64_u32 v[49:50], null, s2, v21, 0
	v_add_co_u32 v41, vcc_lo, s8, v41
	v_lshlrev_b64 v[43:44], 2, v[7:8]
	v_lshlrev_b32_e32 v7, 1, v26
	v_add_co_ci_u32_e32 v42, vcc_lo, s9, v42, vcc_lo
	v_mul_hi_u32 v55, 0x10624dd3, v20
	v_mad_u64_u32 v[51:52], null, s2, v22, 0
	v_lshlrev_b64 v[7:8], 2, v[7:8]
	v_add_co_u32 v43, vcc_lo, s8, v43
	global_load_dwordx2 v[41:42], v[41:42], off offset:480
	v_add_co_ci_u32_e32 v44, vcc_lo, s9, v44, vcc_lo
	v_add_co_u32 v7, vcc_lo, s8, v7
	v_add_co_ci_u32_e32 v8, vcc_lo, s9, v8, vcc_lo
	global_load_dwordx2 v[43:44], v[43:44], off offset:480
	v_add_co_u32 v68, vcc_lo, s12, v12
	global_load_dwordx2 v[7:8], v[7:8], off offset:480
	v_mad_u64_u32 v[25:26], null, s2, v17, 0
	v_add_co_ci_u32_e32 v69, vcc_lo, s13, v13, vcc_lo
	v_mad_u64_u32 v[12:13], null, s2, v24, 0
	v_mov_b32_e32 v27, v46
	v_lshrrev_b32_e32 v46, 3, v53
	ds_read_u16 v70, v30 offset:500
	ds_read_u16 v71, v30 offset:450
	;; [unrolled: 1-line block ×5, first 2 shown]
	ds_read_u16 v75, v33
	ds_read_u16 v76, v32
	;; [unrolled: 1-line block ×3, first 2 shown]
	ds_read_u16 v78, v30 offset:700
	ds_read_u16 v79, v30 offset:650
	;; [unrolled: 1-line block ×4, first 2 shown]
	v_mov_b32_e32 v31, v48
	v_lshrrev_b32_e32 v48, 3, v54
	v_mov_b32_e32 v32, v50
	v_lshrrev_b32_e32 v50, 3, v55
	v_mov_b32_e32 v33, v52
	v_mad_u32_u24 v61, 0xfa, v46, v18
	v_mad_u64_u32 v[52:53], null, s3, v17, v[26:27]
	v_mad_u32_u24 v62, 0xfa, v48, v16
	v_mad_u32_u24 v63, 0xfa, v50, v20
	v_mad_u64_u32 v[17:18], null, s3, v22, v[33:34]
	v_add_nc_u32_e32 v65, 0xfa, v61
	v_add_nc_u32_e32 v66, 0x7d, v62
	;; [unrolled: 1-line block ×5, first 2 shown]
	v_mov_b32_e32 v26, v52
	v_add_nc_u32_e32 v83, 0xfa, v63
	v_mov_b32_e32 v52, v17
	v_mad_u64_u32 v[16:17], null, s2, v64, 0
	v_mad_u64_u32 v[57:58], null, s2, v82, 0
	;; [unrolled: 1-line block ×3, first 2 shown]
	s_waitcnt vmcnt(3)
	v_mad_u64_u32 v[53:54], null, s3, v24, v[13:14]
	v_mad_u64_u32 v[23:24], null, s3, v23, v[27:28]
	;; [unrolled: 1-line block ×7, first 2 shown]
	v_mov_b32_e32 v46, v23
	v_mad_u64_u32 v[22:23], null, s2, v65, 0
	v_mov_b32_e32 v13, v53
	v_mov_b32_e32 v48, v54
	v_mad_u64_u32 v[53:54], null, s2, v66, 0
	v_mad_u64_u32 v[55:56], null, s2, v67, 0
	v_mov_b32_e32 v50, v31
	v_lshlrev_b64 v[24:25], 2, v[25:26]
	v_mov_b32_e32 v31, v33
	v_lshlrev_b64 v[26:27], 2, v[45:46]
	v_lshlrev_b64 v[45:46], 2, v[47:48]
	;; [unrolled: 1-line block ×4, first 2 shown]
	v_mad_u64_u32 v[51:52], null, s3, v61, v[19:20]
	v_mov_b32_e32 v19, v23
	v_mad_u64_u32 v[61:62], null, s3, v62, v[21:22]
	v_mov_b32_e32 v21, v54
	v_mad_u64_u32 v[62:63], null, s3, v63, v[31:32]
	v_add_co_u32 v24, vcc_lo, v68, v24
	v_mov_b32_e32 v23, v56
	v_mad_u64_u32 v[63:64], null, s3, v64, v[17:18]
	v_mov_b32_e32 v17, v58
	v_mad_u64_u32 v[64:65], null, s3, v65, v[19:20]
	v_mad_u64_u32 v[65:66], null, s3, v66, v[21:22]
	;; [unrolled: 1-line block ×3, first 2 shown]
	v_mov_b32_e32 v19, v60
	ds_read_u16 v67, v30 offset:250
	ds_read_u16 v84, v29
	ds_read_u16 v85, v28
	v_mad_u64_u32 v[28:29], null, s3, v82, v[17:18]
	v_mov_b32_e32 v33, v62
	v_mad_u64_u32 v[29:30], null, s3, v83, v[19:20]
	v_mov_b32_e32 v56, v66
	v_lshlrev_b64 v[12:13], 2, v[12:13]
	v_mov_b32_e32 v19, v51
	v_mov_b32_e32 v58, v28
	;; [unrolled: 1-line block ×3, first 2 shown]
	v_lshlrev_b64 v[30:31], 2, v[32:33]
	v_mov_b32_e32 v60, v29
	v_lshlrev_b64 v[32:33], 2, v[55:56]
	v_lshlrev_b64 v[51:52], 2, v[57:58]
	s_waitcnt lgkmcnt(13)
	v_mul_f16_sdwa v55, v71, v39 dst_sel:DWORD dst_unused:UNUSED_PAD src0_sel:DWORD src1_sel:WORD_1
	s_waitcnt lgkmcnt(6)
	v_mul_f16_sdwa v56, v78, v40 dst_sel:DWORD dst_unused:UNUSED_PAD src0_sel:DWORD src1_sel:WORD_1
	v_mul_f16_sdwa v57, v37, v39 dst_sel:DWORD dst_unused:UNUSED_PAD src0_sel:DWORD src1_sel:WORD_1
	;; [unrolled: 1-line block ×3, first 2 shown]
	v_add_co_ci_u32_e32 v25, vcc_lo, v69, v25, vcc_lo
	v_add_co_u32 v12, vcc_lo, v68, v12
	v_add_co_ci_u32_e32 v13, vcc_lo, v69, v13, vcc_lo
	v_mov_b32_e32 v21, v61
	v_lshlrev_b64 v[28:29], 2, v[53:54]
	v_lshlrev_b64 v[53:54], 2, v[59:60]
	s_waitcnt lgkmcnt(2)
	v_mul_f16_sdwa v59, v67, v14 dst_sel:DWORD dst_unused:UNUSED_PAD src0_sel:DWORD src1_sel:WORD_1
	v_mul_f16_sdwa v60, v70, v15 dst_sel:DWORD dst_unused:UNUSED_PAD src0_sel:DWORD src1_sel:WORD_1
	;; [unrolled: 1-line block ×4, first 2 shown]
	v_fma_f16 v37, v37, v39, -v55
	v_fma_f16 v38, v38, v40, -v56
	v_fmac_f16_e32 v57, v39, v71
	v_fmac_f16_e32 v58, v40, v78
	s_waitcnt vmcnt(2)
	v_mul_f16_sdwa v39, v72, v41 dst_sel:DWORD dst_unused:UNUSED_PAD src0_sel:DWORD src1_sel:WORD_1
	v_mul_f16_sdwa v40, v79, v42 dst_sel:DWORD dst_unused:UNUSED_PAD src0_sel:DWORD src1_sel:WORD_1
	;; [unrolled: 1-line block ×4, first 2 shown]
	v_add_co_u32 v26, vcc_lo, v68, v26
	v_add_co_ci_u32_e32 v27, vcc_lo, v69, v27, vcc_lo
	v_add_co_u32 v45, vcc_lo, v68, v45
	v_fma_f16 v36, v36, v14, -v59
	v_fma_f16 v35, v35, v15, -v60
	v_fmac_f16_e32 v61, v14, v67
	v_fmac_f16_e32 v62, v15, v70
	v_add_f16_e32 v15, v57, v58
	v_add_f16_e32 v59, v57, v76
	;; [unrolled: 1-line block ×3, first 2 shown]
	v_fma_f16 v11, v11, v41, -v39
	v_fma_f16 v34, v34, v42, -v40
	v_fmac_f16_e32 v55, v41, v72
	v_fmac_f16_e32 v56, v42, v79
	s_waitcnt vmcnt(1)
	v_mul_f16_sdwa v39, v73, v43 dst_sel:DWORD dst_unused:UNUSED_PAD src0_sel:DWORD src1_sel:WORD_1
	v_mul_f16_sdwa v40, v80, v44 dst_sel:DWORD dst_unused:UNUSED_PAD src0_sel:DWORD src1_sel:WORD_1
	;; [unrolled: 1-line block ×4, first 2 shown]
	v_add_co_ci_u32_e32 v46, vcc_lo, v69, v46, vcc_lo
	v_add_co_u32 v47, vcc_lo, v68, v47
	v_lshlrev_b64 v[18:19], 2, v[18:19]
	v_add_co_ci_u32_e32 v48, vcc_lo, v69, v48, vcc_lo
	v_sub_f16_e32 v14, v37, v38
	v_add_f16_e32 v37, v10, v37
	v_add_co_u32 v49, vcc_lo, v68, v49
	v_mov_b32_e32 v17, v63
	v_mov_b32_e32 v23, v64
	v_lshlrev_b64 v[20:21], 2, v[20:21]
	v_sub_f16_e32 v57, v57, v58
	v_sub_f16_e32 v63, v36, v35
	v_add_f16_e32 v64, v61, v62
	s_waitcnt lgkmcnt(0)
	v_add_f16_e32 v65, v61, v85
	v_add_f16_e32 v66, v36, v35
	;; [unrolled: 1-line block ×3, first 2 shown]
	v_fma_f16 v15, -0.5, v15, v76
	v_add_f16_e32 v58, v58, v59
	v_fma_f16 v10, -0.5, v60, v10
	v_add_f16_e32 v59, v55, v56
	v_add_f16_e32 v67, v11, v34
	v_fma_f16 v6, v6, v43, -v39
	v_fma_f16 v9, v9, v44, -v40
	v_fmac_f16_e32 v41, v43, v73
	v_fmac_f16_e32 v42, v44, v80
	s_waitcnt vmcnt(0)
	v_mul_f16_sdwa v39, v74, v7 dst_sel:DWORD dst_unused:UNUSED_PAD src0_sel:DWORD src1_sel:WORD_1
	v_mul_f16_sdwa v40, v81, v8 dst_sel:DWORD dst_unused:UNUSED_PAD src0_sel:DWORD src1_sel:WORD_1
	;; [unrolled: 1-line block ×4, first 2 shown]
	v_add_co_ci_u32_e32 v50, vcc_lo, v69, v50, vcc_lo
	v_add_co_u32 v18, vcc_lo, v68, v18
	v_add_f16_e32 v37, v37, v38
	v_sub_f16_e32 v38, v11, v34
	v_add_f16_e32 v11, v5, v11
	v_add_co_ci_u32_e32 v19, vcc_lo, v69, v19, vcc_lo
	v_sub_f16_e32 v61, v61, v62
	v_add_f16_e32 v60, v55, v84
	v_sub_f16_e32 v55, v55, v56
	v_fma_f16 v64, -0.5, v64, v85
	v_add_f16_e32 v62, v62, v65
	v_fma_f16 v3, -0.5, v66, v3
	v_add_f16_e32 v35, v36, v35
	v_fmamk_f16 v36, v14, 0x3aee, v15
	v_fmac_f16_e32 v15, 0xbaee, v14
	v_fmamk_f16 v14, v57, 0xbaee, v10
	v_fmac_f16_e32 v10, 0x3aee, v57
	v_fma_f16 v57, -0.5, v59, v84
	v_fma_f16 v5, -0.5, v67, v5
	v_add_f16_e32 v59, v41, v42
	v_fma_f16 v2, v2, v7, -v39
	v_fma_f16 v4, v4, v8, -v40
	v_fmac_f16_e32 v43, v7, v74
	v_fmac_f16_e32 v44, v8, v81
	v_lshlrev_b64 v[16:17], 2, v[16:17]
	v_add_co_u32 v20, vcc_lo, v68, v20
	v_add_co_ci_u32_e32 v21, vcc_lo, v69, v21, vcc_lo
	v_lshlrev_b64 v[22:23], 2, v[22:23]
	v_add_co_u32 v30, vcc_lo, v68, v30
	v_add_f16_e32 v11, v11, v34
	v_sub_f16_e32 v34, v6, v9
	v_add_f16_e32 v65, v6, v9
	v_add_f16_e32 v6, v1, v6
	v_fmamk_f16 v7, v63, 0x3aee, v64
	v_fmac_f16_e32 v64, 0xbaee, v63
	v_fmamk_f16 v8, v61, 0xbaee, v3
	v_fmac_f16_e32 v3, 0x3aee, v61
	v_pack_b32_f16 v35, v35, v62
	v_fmamk_f16 v39, v38, 0x3aee, v57
	v_fmac_f16_e32 v57, 0xbaee, v38
	v_fmamk_f16 v38, v55, 0xbaee, v5
	v_fmac_f16_e32 v5, 0x3aee, v55
	v_fma_f16 v40, -0.5, v59, v75
	v_add_f16_e32 v55, v43, v44
	v_add_f16_e32 v59, v2, v4
	v_add_co_ci_u32_e32 v31, vcc_lo, v69, v31, vcc_lo
	v_add_co_u32 v16, vcc_lo, v68, v16
	v_add_co_ci_u32_e32 v17, vcc_lo, v69, v17, vcc_lo
	v_pack_b32_f16 v37, v37, v58
	v_add_f16_e32 v6, v6, v9
	v_sub_f16_e32 v9, v2, v4
	v_add_f16_e32 v58, v43, v77
	v_add_f16_e32 v2, v0, v2
	v_add_co_u32 v22, vcc_lo, v68, v22
	v_sub_f16_e32 v43, v43, v44
	global_store_dword v[24:25], v35, off
	v_pack_b32_f16 v3, v3, v64
	v_fma_f16 v24, -0.5, v55, v77
	v_fma_f16 v0, -0.5, v59, v0
	v_pack_b32_f16 v7, v8, v7
	v_add_co_ci_u32_e32 v23, vcc_lo, v69, v23, vcc_lo
	v_add_f16_e32 v56, v56, v60
	v_add_f16_e32 v60, v41, v75
	v_add_co_u32 v28, vcc_lo, v68, v28
	v_sub_f16_e32 v41, v41, v42
	v_fma_f16 v1, -0.5, v65, v1
	v_add_f16_e32 v25, v44, v58
	v_add_f16_e32 v2, v2, v4
	v_add_co_ci_u32_e32 v29, vcc_lo, v69, v29, vcc_lo
	global_store_dword v[12:13], v3, off
	global_store_dword v[26:27], v7, off
	v_fmamk_f16 v3, v9, 0x3aee, v24
	v_fmac_f16_e32 v24, 0xbaee, v9
	v_fmamk_f16 v4, v43, 0xbaee, v0
	v_fmac_f16_e32 v0, 0x3aee, v43
	v_add_co_u32 v32, vcc_lo, v68, v32
	v_add_f16_e32 v42, v42, v60
	v_add_co_ci_u32_e32 v33, vcc_lo, v69, v33, vcc_lo
	v_pack_b32_f16 v8, v11, v56
	v_pack_b32_f16 v10, v10, v15
	;; [unrolled: 1-line block ×3, first 2 shown]
	v_fmamk_f16 v14, v34, 0x3aee, v40
	v_fmac_f16_e32 v40, 0xbaee, v34
	v_fmamk_f16 v15, v41, 0xbaee, v1
	v_fmac_f16_e32 v1, 0x3aee, v41
	v_add_co_u32 v51, vcc_lo, v68, v51
	v_pack_b32_f16 v2, v2, v25
	v_pack_b32_f16 v0, v0, v24
	v_add_co_ci_u32_e32 v52, vcc_lo, v69, v52, vcc_lo
	v_pack_b32_f16 v3, v4, v3
	v_add_co_u32 v53, vcc_lo, v68, v53
	v_pack_b32_f16 v6, v6, v42
	v_pack_b32_f16 v1, v1, v40
	v_add_co_ci_u32_e32 v54, vcc_lo, v69, v54, vcc_lo
	v_pack_b32_f16 v5, v5, v57
	v_pack_b32_f16 v7, v38, v39
	;; [unrolled: 1-line block ×3, first 2 shown]
	global_store_dword v[45:46], v2, off
	global_store_dword v[47:48], v0, off
	;; [unrolled: 1-line block ×12, first 2 shown]
.LBB0_14:
	s_endpgm
	.section	.rodata,"a",@progbits
	.p2align	6, 0x0
	.amdhsa_kernel fft_rtc_fwd_len375_factors_5_5_5_3_wgs_125_tpt_25_halfLds_half_ip_CI_sbrr_dirReg
		.amdhsa_group_segment_fixed_size 0
		.amdhsa_private_segment_fixed_size 0
		.amdhsa_kernarg_size 88
		.amdhsa_user_sgpr_count 6
		.amdhsa_user_sgpr_private_segment_buffer 1
		.amdhsa_user_sgpr_dispatch_ptr 0
		.amdhsa_user_sgpr_queue_ptr 0
		.amdhsa_user_sgpr_kernarg_segment_ptr 1
		.amdhsa_user_sgpr_dispatch_id 0
		.amdhsa_user_sgpr_flat_scratch_init 0
		.amdhsa_user_sgpr_private_segment_size 0
		.amdhsa_wavefront_size32 1
		.amdhsa_uses_dynamic_stack 0
		.amdhsa_system_sgpr_private_segment_wavefront_offset 0
		.amdhsa_system_sgpr_workgroup_id_x 1
		.amdhsa_system_sgpr_workgroup_id_y 0
		.amdhsa_system_sgpr_workgroup_id_z 0
		.amdhsa_system_sgpr_workgroup_info 0
		.amdhsa_system_vgpr_workitem_id 0
		.amdhsa_next_free_vgpr 86
		.amdhsa_next_free_sgpr 23
		.amdhsa_reserve_vcc 1
		.amdhsa_reserve_flat_scratch 0
		.amdhsa_float_round_mode_32 0
		.amdhsa_float_round_mode_16_64 0
		.amdhsa_float_denorm_mode_32 3
		.amdhsa_float_denorm_mode_16_64 3
		.amdhsa_dx10_clamp 1
		.amdhsa_ieee_mode 1
		.amdhsa_fp16_overflow 0
		.amdhsa_workgroup_processor_mode 1
		.amdhsa_memory_ordered 1
		.amdhsa_forward_progress 0
		.amdhsa_shared_vgpr_count 0
		.amdhsa_exception_fp_ieee_invalid_op 0
		.amdhsa_exception_fp_denorm_src 0
		.amdhsa_exception_fp_ieee_div_zero 0
		.amdhsa_exception_fp_ieee_overflow 0
		.amdhsa_exception_fp_ieee_underflow 0
		.amdhsa_exception_fp_ieee_inexact 0
		.amdhsa_exception_int_div_zero 0
	.end_amdhsa_kernel
	.text
.Lfunc_end0:
	.size	fft_rtc_fwd_len375_factors_5_5_5_3_wgs_125_tpt_25_halfLds_half_ip_CI_sbrr_dirReg, .Lfunc_end0-fft_rtc_fwd_len375_factors_5_5_5_3_wgs_125_tpt_25_halfLds_half_ip_CI_sbrr_dirReg
                                        ; -- End function
	.section	.AMDGPU.csdata,"",@progbits
; Kernel info:
; codeLenInByte = 9904
; NumSgprs: 25
; NumVgprs: 86
; ScratchSize: 0
; MemoryBound: 0
; FloatMode: 240
; IeeeMode: 1
; LDSByteSize: 0 bytes/workgroup (compile time only)
; SGPRBlocks: 3
; VGPRBlocks: 10
; NumSGPRsForWavesPerEU: 25
; NumVGPRsForWavesPerEU: 86
; Occupancy: 10
; WaveLimiterHint : 1
; COMPUTE_PGM_RSRC2:SCRATCH_EN: 0
; COMPUTE_PGM_RSRC2:USER_SGPR: 6
; COMPUTE_PGM_RSRC2:TRAP_HANDLER: 0
; COMPUTE_PGM_RSRC2:TGID_X_EN: 1
; COMPUTE_PGM_RSRC2:TGID_Y_EN: 0
; COMPUTE_PGM_RSRC2:TGID_Z_EN: 0
; COMPUTE_PGM_RSRC2:TIDIG_COMP_CNT: 0
	.text
	.p2alignl 6, 3214868480
	.fill 48, 4, 3214868480
	.type	__hip_cuid_b9d763f47204400a,@object ; @__hip_cuid_b9d763f47204400a
	.section	.bss,"aw",@nobits
	.globl	__hip_cuid_b9d763f47204400a
__hip_cuid_b9d763f47204400a:
	.byte	0                               ; 0x0
	.size	__hip_cuid_b9d763f47204400a, 1

	.ident	"AMD clang version 19.0.0git (https://github.com/RadeonOpenCompute/llvm-project roc-6.4.0 25133 c7fe45cf4b819c5991fe208aaa96edf142730f1d)"
	.section	".note.GNU-stack","",@progbits
	.addrsig
	.addrsig_sym __hip_cuid_b9d763f47204400a
	.amdgpu_metadata
---
amdhsa.kernels:
  - .args:
      - .actual_access:  read_only
        .address_space:  global
        .offset:         0
        .size:           8
        .value_kind:     global_buffer
      - .offset:         8
        .size:           8
        .value_kind:     by_value
      - .actual_access:  read_only
        .address_space:  global
        .offset:         16
        .size:           8
        .value_kind:     global_buffer
      - .actual_access:  read_only
        .address_space:  global
        .offset:         24
        .size:           8
        .value_kind:     global_buffer
      - .offset:         32
        .size:           8
        .value_kind:     by_value
      - .actual_access:  read_only
        .address_space:  global
        .offset:         40
        .size:           8
        .value_kind:     global_buffer
      - .actual_access:  read_only
        .address_space:  global
        .offset:         48
        .size:           8
        .value_kind:     global_buffer
      - .offset:         56
        .size:           4
        .value_kind:     by_value
      - .actual_access:  read_only
        .address_space:  global
        .offset:         64
        .size:           8
        .value_kind:     global_buffer
      - .actual_access:  read_only
        .address_space:  global
        .offset:         72
        .size:           8
        .value_kind:     global_buffer
      - .address_space:  global
        .offset:         80
        .size:           8
        .value_kind:     global_buffer
    .group_segment_fixed_size: 0
    .kernarg_segment_align: 8
    .kernarg_segment_size: 88
    .language:       OpenCL C
    .language_version:
      - 2
      - 0
    .max_flat_workgroup_size: 125
    .name:           fft_rtc_fwd_len375_factors_5_5_5_3_wgs_125_tpt_25_halfLds_half_ip_CI_sbrr_dirReg
    .private_segment_fixed_size: 0
    .sgpr_count:     25
    .sgpr_spill_count: 0
    .symbol:         fft_rtc_fwd_len375_factors_5_5_5_3_wgs_125_tpt_25_halfLds_half_ip_CI_sbrr_dirReg.kd
    .uniform_work_group_size: 1
    .uses_dynamic_stack: false
    .vgpr_count:     86
    .vgpr_spill_count: 0
    .wavefront_size: 32
    .workgroup_processor_mode: 1
amdhsa.target:   amdgcn-amd-amdhsa--gfx1030
amdhsa.version:
  - 1
  - 2
...

	.end_amdgpu_metadata
